;; amdgpu-corpus repo=ROCm/rocFFT kind=compiled arch=gfx906 opt=O3
	.text
	.amdgcn_target "amdgcn-amd-amdhsa--gfx906"
	.amdhsa_code_object_version 6
	.protected	fft_rtc_back_len54_factors_3_3_6_wgs_60_tpt_6_dim1_sp_op_CI_CI_unitstride_sbrr_R2C_dirReg ; -- Begin function fft_rtc_back_len54_factors_3_3_6_wgs_60_tpt_6_dim1_sp_op_CI_CI_unitstride_sbrr_R2C_dirReg
	.globl	fft_rtc_back_len54_factors_3_3_6_wgs_60_tpt_6_dim1_sp_op_CI_CI_unitstride_sbrr_R2C_dirReg
	.p2align	8
	.type	fft_rtc_back_len54_factors_3_3_6_wgs_60_tpt_6_dim1_sp_op_CI_CI_unitstride_sbrr_R2C_dirReg,@function
fft_rtc_back_len54_factors_3_3_6_wgs_60_tpt_6_dim1_sp_op_CI_CI_unitstride_sbrr_R2C_dirReg: ; @fft_rtc_back_len54_factors_3_3_6_wgs_60_tpt_6_dim1_sp_op_CI_CI_unitstride_sbrr_R2C_dirReg
; %bb.0:
	v_mul_u32_u24_e32 v1, 0x2aab, v0
	v_lshrrev_b32_e32 v1, 16, v1
	v_mad_u64_u32 v[18:19], s[0:1], s6, 10, v[1:2]
	s_mov_b32 s0, 0xcccccccd
	v_mov_b32_e32 v19, 0
	v_mul_hi_u32 v2, v18, s0
	s_load_dwordx2 s[8:9], s[4:5], 0x0
	s_load_dwordx2 s[0:1], s[4:5], 0x20
	s_movk_i32 s2, 0x2aab
                                        ; implicit-def: $vgpr17
                                        ; implicit-def: $vgpr16
                                        ; implicit-def: $vgpr21
	v_lshrrev_b32_e32 v2, 3, v2
	v_mul_lo_u32 v2, v2, 10
	s_waitcnt lgkmcnt(0)
	v_cmp_gt_u64_e32 vcc, s[0:1], v[18:19]
	v_cmp_le_u64_e64 s[0:1], s[0:1], v[18:19]
                                        ; implicit-def: $vgpr19
	v_sub_u32_e32 v2, v18, v2
	s_and_saveexec_b64 s[6:7], s[0:1]
	s_xor_b64 s[0:1], exec, s[6:7]
; %bb.1:
	v_mul_u32_u24_sdwa v1, v0, s2 dst_sel:DWORD dst_unused:UNUSED_PAD src0_sel:WORD_0 src1_sel:DWORD
	v_mov_b32_e32 v3, 6
	v_mul_lo_u16_sdwa v1, v1, v3 dst_sel:DWORD dst_unused:UNUSED_PAD src0_sel:WORD_1 src1_sel:DWORD
	v_sub_u16_e32 v16, v0, v1
	v_sub_u16_e32 v17, v0, v1
	v_add_u32_e32 v19, 6, v16
	v_add_u32_e32 v21, 12, v16
                                        ; implicit-def: $vgpr1
                                        ; implicit-def: $vgpr0
; %bb.2:
	s_or_saveexec_b64 s[2:3], s[0:1]
	s_load_dwordx2 s[6:7], s[4:5], 0x18
	v_mul_u32_u24_e32 v2, 55, v2
	v_lshlrev_b32_e32 v4, 3, v2
	s_xor_b64 exec, exec, s[2:3]
	s_cbranch_execz .LBB0_4
; %bb.3:
	s_load_dwordx2 s[0:1], s[4:5], 0x10
	s_load_dwordx2 s[10:11], s[4:5], 0x50
	v_mul_lo_u16_e32 v15, 6, v1
	v_sub_u16_e32 v16, v0, v15
	v_lshlrev_b32_e32 v20, 3, v16
	s_waitcnt lgkmcnt(0)
	s_load_dwordx2 s[0:1], s[0:1], 0x8
	v_sub_u16_e32 v17, v0, v15
	v_add_u32_e32 v19, 6, v16
	v_add_u32_e32 v21, 12, v16
	v_add3_u32 v0, 0, v4, v20
	s_waitcnt lgkmcnt(0)
	v_mad_u64_u32 v[2:3], s[12:13], s0, v18, 0
	v_mov_b32_e32 v1, v3
	v_mad_u64_u32 v[5:6], s[0:1], s1, v18, v[1:2]
	v_mov_b32_e32 v6, s11
	v_mov_b32_e32 v3, v5
	v_lshlrev_b64 v[1:2], 3, v[2:3]
	v_add_co_u32_e64 v1, s[0:1], s10, v1
	v_addc_co_u32_e64 v2, s[0:1], v6, v2, s[0:1]
	v_add_co_u32_e64 v1, s[0:1], v1, v20
	v_addc_co_u32_e64 v2, s[0:1], 0, v2, s[0:1]
	global_load_dwordx2 v[5:6], v[1:2], off
	global_load_dwordx2 v[7:8], v[1:2], off offset:48
	global_load_dwordx2 v[9:10], v[1:2], off offset:96
	;; [unrolled: 1-line block ×8, first 2 shown]
	s_waitcnt vmcnt(7)
	ds_write2_b64 v0, v[5:6], v[7:8] offset1:6
	s_waitcnt vmcnt(5)
	ds_write2_b64 v0, v[9:10], v[11:12] offset0:12 offset1:18
	s_waitcnt vmcnt(3)
	ds_write2_b64 v0, v[13:14], v[22:23] offset0:24 offset1:30
	;; [unrolled: 2-line block ×3, first 2 shown]
	s_waitcnt vmcnt(0)
	ds_write_b64 v0, v[28:29] offset:384
.LBB0_4:
	s_or_b64 exec, exec, s[2:3]
	v_add_u32_e32 v30, 0, v4
	v_lshlrev_b32_e32 v20, 3, v16
	v_add_u32_e32 v31, v30, v20
	v_add3_u32 v32, 0, v20, v4
	s_waitcnt lgkmcnt(0)
	s_load_dwordx2 s[6:7], s[6:7], 0x8
	s_waitcnt lgkmcnt(0)
	; wave barrier
	s_waitcnt lgkmcnt(0)
	ds_read_b64 v[13:14], v31
	ds_read2_b64 v[0:3], v32 offset0:18 offset1:24
	ds_read2_b64 v[5:8], v32 offset0:30 offset1:36
	;; [unrolled: 1-line block ×4, first 2 shown]
	s_waitcnt lgkmcnt(0)
	; wave barrier
	s_waitcnt lgkmcnt(0)
	v_add_f32_e32 v15, v13, v0
	v_add_f32_e32 v26, v0, v7
	;; [unrolled: 1-line block ×4, first 2 shown]
	v_sub_f32_e32 v27, v1, v8
	v_sub_f32_e32 v33, v0, v7
	v_add_f32_e32 v0, v15, v7
	v_add_f32_e32 v1, v28, v8
	;; [unrolled: 1-line block ×4, first 2 shown]
	v_fma_f32 v13, -0.5, v26, v13
	v_fmac_f32_e32 v14, -0.5, v29
	v_add_f32_e32 v34, v9, v2
	v_add_f32_e32 v15, v5, v24
	v_sub_f32_e32 v28, v6, v25
	v_add_f32_e32 v40, v6, v25
	v_sub_f32_e32 v41, v5, v24
	v_add_f32_e32 v5, v7, v24
	v_add_f32_e32 v6, v8, v25
	v_mov_b32_e32 v7, v13
	v_mov_b32_e32 v8, v14
	v_add_f32_e32 v35, v2, v22
	v_add_f32_e32 v38, v3, v23
	v_sub_f32_e32 v39, v2, v22
	v_add_f32_e32 v2, v34, v22
	v_fmac_f32_e32 v7, 0xbf5db3d7, v27
	v_fmac_f32_e32 v8, 0x3f5db3d7, v33
	v_lshl_add_u32 v22, v16, 4, v32
	v_sub_f32_e32 v36, v3, v23
	ds_write2_b64 v22, v[0:1], v[7:8] offset1:1
	v_fmac_f32_e32 v13, 0x3f5db3d7, v27
	v_fmac_f32_e32 v14, 0xbf5db3d7, v33
	v_fma_f32 v0, -0.5, v35, v9
	v_fma_f32 v1, -0.5, v38, v10
	ds_write_b64 v22, v[13:14] offset:16
	v_mov_b32_e32 v7, v0
	v_mov_b32_e32 v8, v1
	v_mad_i32_i24 v13, v19, 24, v30
	v_fmac_f32_e32 v0, 0x3f5db3d7, v36
	v_fmac_f32_e32 v1, 0xbf5db3d7, v39
	v_fma_f32 v11, -0.5, v15, v11
	v_fmac_f32_e32 v12, -0.5, v40
	v_add_f32_e32 v37, v10, v3
	ds_write_b64 v13, v[0:1] offset:16
	v_mov_b32_e32 v0, v11
	v_mov_b32_e32 v1, v12
	v_add_u32_e32 v33, -3, v16
	v_cmp_gt_u16_e64 s[0:1], 3, v17
	v_add_f32_e32 v3, v37, v23
	v_fmac_f32_e32 v7, 0xbf5db3d7, v36
	v_fmac_f32_e32 v8, 0x3f5db3d7, v39
	;; [unrolled: 1-line block ×4, first 2 shown]
	v_mad_i32_i24 v14, v21, 24, v30
	v_cndmask_b32_e64 v15, v33, v16, s[0:1]
	ds_write2_b64 v13, v[2:3], v[7:8] offset1:1
	ds_write2_b64 v14, v[5:6], v[0:1] offset1:1
	v_lshlrev_b32_e32 v0, 1, v15
	v_mov_b32_e32 v1, 0
	v_lshlrev_b64 v[0:1], 3, v[0:1]
	v_mov_b32_e32 v2, s9
	v_add_co_u32_e64 v0, s[2:3], s8, v0
	v_fmac_f32_e32 v11, 0x3f5db3d7, v28
	v_fmac_f32_e32 v12, 0xbf5db3d7, v41
	v_addc_co_u32_e64 v1, s[2:3], v2, v1, s[2:3]
	ds_write_b64 v14, v[11:12] offset:16
	s_waitcnt lgkmcnt(0)
	; wave barrier
	s_waitcnt lgkmcnt(0)
	global_load_dwordx4 v[0:3], v[0:1], off
	s_movk_i32 s2, 0xab
	v_mul_lo_u16_sdwa v5, v19, s2 dst_sel:DWORD dst_unused:UNUSED_PAD src0_sel:BYTE_0 src1_sel:DWORD
	v_lshrrev_b16_e32 v34, 9, v5
	v_mul_lo_u16_e32 v5, 3, v34
	v_mul_lo_u16_sdwa v10, v21, s2 dst_sel:DWORD dst_unused:UNUSED_PAD src0_sel:BYTE_0 src1_sel:DWORD
	v_sub_u16_e32 v35, v19, v5
	v_mov_b32_e32 v9, 4
	v_lshrrev_b16_e32 v36, 9, v10
	v_lshlrev_b32_sdwa v5, v9, v35 dst_sel:DWORD dst_unused:UNUSED_PAD src0_sel:DWORD src1_sel:BYTE_0
	v_mul_lo_u16_e32 v10, 3, v36
	global_load_dwordx4 v[5:8], v5, s[8:9]
	v_sub_u16_e32 v37, v21, v10
	v_lshlrev_b32_sdwa v9, v9, v37 dst_sel:DWORD dst_unused:UNUSED_PAD src0_sel:DWORD src1_sel:BYTE_0
	global_load_dwordx4 v[9:12], v9, s[8:9]
	ds_read2_b64 v[22:25], v32 offset0:18 offset1:24
	ds_read2_b64 v[26:29], v32 offset0:30 offset1:36
	v_cmp_lt_u16_e64 s[2:3], 2, v17
	s_waitcnt vmcnt(2) lgkmcnt(1)
	v_mul_f32_e32 v38, v1, v23
	v_mul_f32_e32 v1, v1, v22
	v_fmac_f32_e32 v38, v0, v22
	v_fma_f32 v22, v0, v23, -v1
	s_waitcnt lgkmcnt(0)
	v_mul_f32_e32 v23, v3, v29
	v_mul_f32_e32 v0, v3, v28
	v_fmac_f32_e32 v23, v2, v28
	v_fma_f32 v28, v2, v29, -v0
	ds_read2_b64 v[0:3], v32 offset0:42 offset1:48
	s_waitcnt vmcnt(1)
	v_mul_f32_e32 v29, v6, v25
	v_fmac_f32_e32 v29, v5, v24
	s_waitcnt lgkmcnt(0)
	v_mul_f32_e32 v39, v8, v1
	v_fmac_f32_e32 v39, v7, v0
	v_mul_f32_e32 v0, v8, v0
	v_fma_f32 v40, v7, v1, -v0
	s_waitcnt vmcnt(0)
	v_mul_f32_e32 v41, v10, v27
	v_mul_f32_e32 v0, v10, v26
	v_fmac_f32_e32 v41, v9, v26
	v_fma_f32 v26, v9, v27, -v0
	v_mul_f32_e32 v27, v3, v12
	v_mul_f32_e32 v0, v2, v12
	v_fmac_f32_e32 v27, v2, v11
	v_fma_f32 v11, v3, v11, -v0
	v_lshlrev_b32_e32 v0, 4, v19
	v_mul_f32_e32 v6, v6, v24
	v_sub_u32_e32 v24, v13, v0
	ds_read_b64 v[0:1], v31
	v_add_f32_e32 v8, v38, v23
	v_add_f32_e32 v9, v22, v28
	v_lshlrev_b32_e32 v2, 4, v21
	v_sub_u32_e32 v2, v14, v2
	s_waitcnt lgkmcnt(0)
	v_add_f32_e32 v7, v0, v38
	v_fma_f32 v0, -0.5, v8, v0
	v_add_f32_e32 v8, v1, v22
	v_fmac_f32_e32 v1, -0.5, v9
	v_mov_b32_e32 v9, 0x48
	v_cndmask_b32_e64 v9, 0, v9, s[2:3]
	v_fma_f32 v25, v5, v25, -v6
	ds_read_b64 v[5:6], v24
	ds_read_b64 v[2:3], v2
	v_add_u32_e32 v9, 0, v9
	v_lshlrev_b32_e32 v10, 3, v15
	v_sub_f32_e32 v12, v22, v28
	v_sub_f32_e32 v13, v38, v23
	v_add3_u32 v14, v9, v10, v4
	v_mov_b32_e32 v9, v0
	v_mov_b32_e32 v10, v1
	v_add_f32_e32 v7, v7, v23
	v_add_f32_e32 v8, v8, v28
	v_fmac_f32_e32 v9, 0xbf5db3d7, v12
	v_fmac_f32_e32 v10, 0x3f5db3d7, v13
	;; [unrolled: 1-line block ×4, first 2 shown]
	s_waitcnt lgkmcnt(0)
	; wave barrier
	s_waitcnt lgkmcnt(0)
	ds_write2_b64 v14, v[7:8], v[9:10] offset1:3
	ds_write_b64 v14, v[0:1] offset:48
	v_add_f32_e32 v1, v29, v39
	v_add_f32_e32 v7, v25, v40
	s_movk_i32 s2, 0x48
	v_mov_b32_e32 v12, 3
	v_add_f32_e32 v0, v5, v29
	v_fma_f32 v5, -0.5, v1, v5
	v_add_f32_e32 v1, v6, v25
	v_fmac_f32_e32 v6, -0.5, v7
	v_mad_u32_u24 v7, v34, s2, 0
	v_lshlrev_b32_sdwa v8, v12, v35 dst_sel:DWORD dst_unused:UNUSED_PAD src0_sel:DWORD src1_sel:BYTE_0
	v_sub_f32_e32 v9, v25, v40
	v_sub_f32_e32 v10, v29, v39
	v_add3_u32 v13, v7, v8, v4
	v_mov_b32_e32 v7, v5
	v_mov_b32_e32 v8, v6
	v_add_f32_e32 v0, v0, v39
	v_add_f32_e32 v1, v1, v40
	v_fmac_f32_e32 v7, 0xbf5db3d7, v9
	v_fmac_f32_e32 v8, 0x3f5db3d7, v10
	ds_write2_b64 v13, v[0:1], v[7:8] offset1:3
	v_lshlrev_b32_sdwa v0, v12, v37 dst_sel:DWORD dst_unused:UNUSED_PAD src0_sel:DWORD src1_sel:BYTE_0
	v_mad_u32_u24 v1, v36, s2, 0
	v_add3_u32 v4, v1, v0, v4
	v_add_f32_e32 v1, v2, v41
	v_add_f32_e32 v0, v41, v27
	;; [unrolled: 1-line block ×4, first 2 shown]
	v_fmac_f32_e32 v5, 0x3f5db3d7, v9
	v_fmac_f32_e32 v6, 0xbf5db3d7, v10
	v_fma_f32 v2, -0.5, v0, v2
	v_add_f32_e32 v23, v1, v11
	v_add_f32_e32 v1, v26, v11
	ds_write_b64 v13, v[5:6] offset:48
	v_mov_b32_e32 v0, v2
	v_sub_f32_e32 v5, v26, v11
	v_fmac_f32_e32 v3, -0.5, v1
	v_fmac_f32_e32 v0, 0xbf5db3d7, v5
	v_fmac_f32_e32 v2, 0x3f5db3d7, v5
	v_sub_f32_e32 v5, v41, v27
	v_mov_b32_e32 v1, v3
	v_fmac_f32_e32 v1, 0x3f5db3d7, v5
	v_fmac_f32_e32 v3, 0xbf5db3d7, v5
	ds_write2_b64 v4, v[22:23], v[0:1] offset1:3
	ds_write_b64 v4, v[2:3] offset:48
	s_waitcnt lgkmcnt(0)
	; wave barrier
	s_waitcnt lgkmcnt(0)
	ds_read_b64 v[26:27], v31
	ds_read_b64 v[28:29], v32 offset:360
	ds_read2_b64 v[12:15], v32 offset0:9 offset1:18
	ds_read2_b64 v[8:11], v32 offset0:27 offset1:36
                                        ; implicit-def: $vgpr25
                                        ; implicit-def: $vgpr7
	s_and_saveexec_b64 s[2:3], s[0:1]
	s_cbranch_execz .LBB0_6
; %bb.5:
	ds_read2_b64 v[0:3], v32 offset0:15 offset1:24
	ds_read2_b64 v[4:7], v32 offset0:33 offset1:42
	ds_read_b64 v[22:23], v24
	ds_read_b64 v[24:25], v32 offset:408
	v_mov_b32_e32 v33, v19
.LBB0_6:
	s_or_b64 exec, exec, s[2:3]
	v_mul_u32_u24_e32 v34, 5, v16
	v_lshlrev_b32_e32 v44, 3, v34
	global_load_dwordx4 v[34:37], v44, s[8:9] offset:48
	global_load_dwordx4 v[38:41], v44, s[8:9] offset:64
	global_load_dwordx2 v[42:43], v44, s[8:9] offset:80
	s_waitcnt lgkmcnt(0)
	; wave barrier
	s_waitcnt vmcnt(2) lgkmcnt(0)
	v_mul_f32_e32 v44, v35, v13
	v_mul_f32_e32 v35, v35, v12
	;; [unrolled: 1-line block ×3, first 2 shown]
	s_waitcnt vmcnt(1)
	v_mul_f32_e32 v46, v39, v9
	v_mul_f32_e32 v39, v39, v8
	;; [unrolled: 1-line block ×3, first 2 shown]
	s_waitcnt vmcnt(0)
	v_mul_f32_e32 v48, v43, v29
	v_mul_f32_e32 v43, v43, v28
	;; [unrolled: 1-line block ×4, first 2 shown]
	v_fmac_f32_e32 v44, v34, v12
	v_fma_f32 v12, v34, v13, -v35
	v_fmac_f32_e32 v45, v36, v14
	v_fmac_f32_e32 v46, v38, v8
	v_fma_f32 v8, v38, v9, -v39
	v_fmac_f32_e32 v47, v40, v10
	v_fma_f32 v10, v42, v29, -v43
	v_fma_f32 v13, v36, v15, -v37
	;; [unrolled: 1-line block ×3, first 2 shown]
	v_fmac_f32_e32 v48, v42, v28
	v_add_f32_e32 v14, v45, v47
	v_sub_f32_e32 v36, v8, v10
	v_add_f32_e32 v37, v12, v8
	v_add_f32_e32 v8, v8, v10
	;; [unrolled: 1-line block ×3, first 2 shown]
	v_sub_f32_e32 v15, v13, v9
	v_add_f32_e32 v28, v27, v13
	v_add_f32_e32 v13, v13, v9
	;; [unrolled: 1-line block ×4, first 2 shown]
	v_sub_f32_e32 v38, v46, v48
	v_fma_f32 v14, -0.5, v14, v26
	v_fmac_f32_e32 v12, -0.5, v8
	v_add_f32_e32 v11, v11, v47
	v_add_f32_e32 v26, v28, v9
	v_fmac_f32_e32 v27, -0.5, v13
	v_add_f32_e32 v13, v34, v48
	v_fmac_f32_e32 v44, -0.5, v35
	v_add_f32_e32 v28, v37, v10
	v_mov_b32_e32 v34, v14
	v_mov_b32_e32 v39, v12
	v_fmac_f32_e32 v12, 0xbf5db3d7, v38
	v_sub_f32_e32 v29, v45, v47
	v_fmac_f32_e32 v14, 0x3f5db3d7, v15
	v_mov_b32_e32 v35, v27
	v_mov_b32_e32 v37, v44
	v_fmac_f32_e32 v44, 0x3f5db3d7, v36
	v_add_f32_e32 v8, v11, v13
	v_add_f32_e32 v9, v26, v28
	v_sub_f32_e32 v10, v11, v13
	v_sub_f32_e32 v11, v26, v28
	v_fmac_f32_e32 v34, 0xbf5db3d7, v15
	v_fmac_f32_e32 v39, 0x3f5db3d7, v38
	v_mul_f32_e32 v15, 0xbf5db3d7, v12
	v_mul_f32_e32 v26, -0.5, v12
	v_fmac_f32_e32 v27, 0xbf5db3d7, v29
	v_fmac_f32_e32 v35, 0x3f5db3d7, v29
	;; [unrolled: 1-line block ×3, first 2 shown]
	v_mul_f32_e32 v28, 0xbf5db3d7, v39
	v_fmac_f32_e32 v15, -0.5, v44
	v_mul_f32_e32 v29, 0.5, v39
	v_fmac_f32_e32 v26, 0x3f5db3d7, v44
	v_fmac_f32_e32 v28, 0.5, v37
	v_add_f32_e32 v12, v14, v15
	v_fmac_f32_e32 v29, 0x3f5db3d7, v37
	v_add_f32_e32 v13, v27, v26
	v_sub_f32_e32 v14, v14, v15
	v_sub_f32_e32 v15, v27, v26
	v_add_f32_e32 v26, v34, v28
	v_add_f32_e32 v27, v35, v29
	v_sub_f32_e32 v28, v34, v28
	v_sub_f32_e32 v29, v35, v29
	ds_write2_b64 v32, v[12:13], v[10:11] offset0:18 offset1:27
	ds_write2_b64 v32, v[8:9], v[26:27] offset1:9
	ds_write2_b64 v32, v[28:29], v[14:15] offset0:36 offset1:45
	s_and_saveexec_b64 s[2:3], s[0:1]
	s_cbranch_execz .LBB0_8
; %bb.7:
	v_mul_i32_i24_e32 v8, 5, v33
	v_mov_b32_e32 v9, 0
	v_lshlrev_b64 v[8:9], 3, v[8:9]
	v_mov_b32_e32 v10, s9
	v_add_co_u32_e64 v26, s[0:1], s8, v8
	v_addc_co_u32_e64 v27, s[0:1], v10, v9, s[0:1]
	global_load_dwordx4 v[8:11], v[26:27], off offset:48
	global_load_dwordx4 v[12:15], v[26:27], off offset:64
	global_load_dwordx2 v[28:29], v[26:27], off offset:80
	s_waitcnt vmcnt(2)
	v_mul_f32_e32 v26, v2, v11
	s_waitcnt vmcnt(1)
	v_mul_f32_e32 v27, v6, v15
	v_mul_f32_e32 v11, v3, v11
	;; [unrolled: 1-line block ×4, first 2 shown]
	s_waitcnt vmcnt(0)
	v_mul_f32_e32 v35, v25, v29
	v_mul_f32_e32 v13, v4, v13
	;; [unrolled: 1-line block ×5, first 2 shown]
	v_fma_f32 v3, v3, v10, -v26
	v_fma_f32 v7, v7, v14, -v27
	v_fmac_f32_e32 v11, v2, v10
	v_fmac_f32_e32 v33, v0, v8
	v_fmac_f32_e32 v34, v4, v12
	v_fmac_f32_e32 v35, v24, v28
	v_fma_f32 v0, v5, v12, -v13
	v_fma_f32 v2, v25, v28, -v29
	v_fmac_f32_e32 v15, v6, v14
	v_fma_f32 v1, v1, v8, -v9
	v_add_f32_e32 v4, v3, v7
	v_add_f32_e32 v6, v34, v35
	;; [unrolled: 1-line block ×3, first 2 shown]
	v_sub_f32_e32 v8, v0, v2
	v_sub_f32_e32 v10, v34, v35
	v_add_f32_e32 v12, v23, v3
	v_add_f32_e32 v0, v1, v0
	v_add_f32_e32 v13, v11, v15
	v_fma_f32 v23, -0.5, v4, v23
	v_fma_f32 v4, -0.5, v6, v33
	v_fma_f32 v6, -0.5, v9, v1
	v_sub_f32_e32 v5, v11, v15
	v_sub_f32_e32 v14, v3, v7
	v_add_f32_e32 v3, v22, v11
	v_add_f32_e32 v11, v33, v34
	v_add_f32_e32 v7, v12, v7
	v_add_f32_e32 v2, v0, v2
	v_fma_f32 v9, -0.5, v13, v22
	v_mov_b32_e32 v22, v6
	v_fmac_f32_e32 v6, 0x3f5db3d7, v10
	v_add_f32_e32 v12, v3, v15
	v_add_f32_e32 v11, v11, v35
	v_mov_b32_e32 v15, v4
	v_fmac_f32_e32 v4, 0xbf5db3d7, v8
	v_sub_f32_e32 v1, v7, v2
	v_add_f32_e32 v3, v7, v2
	v_fmac_f32_e32 v22, 0xbf5db3d7, v10
	v_mul_f32_e32 v7, 0.5, v6
	v_mul_f32_e32 v6, 0xbf5db3d7, v6
	v_mov_b32_e32 v13, v23
	v_fmac_f32_e32 v23, 0x3f5db3d7, v5
	v_mov_b32_e32 v24, v9
	v_fmac_f32_e32 v9, 0xbf5db3d7, v14
	v_sub_f32_e32 v0, v12, v11
	v_add_f32_e32 v2, v12, v11
	v_fmac_f32_e32 v15, 0x3f5db3d7, v8
	v_mul_f32_e32 v10, -0.5, v22
	v_fmac_f32_e32 v7, 0x3f5db3d7, v4
	v_mul_f32_e32 v12, 0xbf5db3d7, v22
	v_fmac_f32_e32 v6, 0.5, v4
	v_fmac_f32_e32 v13, 0xbf5db3d7, v5
	v_fmac_f32_e32 v24, 0x3f5db3d7, v14
	;; [unrolled: 1-line block ×3, first 2 shown]
	v_sub_f32_e32 v5, v23, v7
	v_fmac_f32_e32 v12, -0.5, v15
	v_sub_f32_e32 v4, v9, v6
	v_add_f32_e32 v7, v23, v7
	v_add_f32_e32 v6, v9, v6
	v_sub_f32_e32 v9, v13, v10
	v_sub_f32_e32 v8, v24, v12
	v_add_f32_e32 v11, v13, v10
	v_add_f32_e32 v10, v24, v12
	ds_write2_b64 v32, v[2:3], v[6:7] offset0:6 offset1:15
	ds_write2_b64 v32, v[10:11], v[0:1] offset0:24 offset1:33
	;; [unrolled: 1-line block ×3, first 2 shown]
.LBB0_8:
	s_or_b64 exec, exec, s[2:3]
	s_waitcnt lgkmcnt(0)
	; wave barrier
	s_waitcnt lgkmcnt(0)
	ds_read_b64 v[2:3], v31
	v_sub_u32_e32 v4, v30, v20
	v_cmp_ne_u16_e64 s[0:1], 0, v17
                                        ; implicit-def: $vgpr1
                                        ; implicit-def: $vgpr5
	s_and_saveexec_b64 s[2:3], s[0:1]
	s_xor_b64 s[0:1], exec, s[2:3]
	s_cbranch_execz .LBB0_10
; %bb.9:
	v_mov_b32_e32 v0, 3
	v_lshlrev_b32_sdwa v0, v0, v17 dst_sel:DWORD dst_unused:UNUSED_PAD src0_sel:DWORD src1_sel:WORD_0
	global_load_dwordx2 v[6:7], v0, s[8:9] offset:408
	ds_read_b64 v[0:1], v4 offset:432
	s_waitcnt lgkmcnt(0)
	v_add_f32_e32 v8, v0, v2
	v_sub_f32_e32 v0, v2, v0
	v_add_f32_e32 v5, v1, v3
	v_sub_f32_e32 v1, v3, v1
	v_mul_f32_e32 v3, 0.5, v0
	v_mul_f32_e32 v0, 0.5, v1
	;; [unrolled: 1-line block ×3, first 2 shown]
	s_waitcnt vmcnt(0)
	v_mul_f32_e32 v1, v7, v3
	v_fma_f32 v9, 0.5, v8, v1
	v_fma_f32 v5, v2, v7, v0
	v_fma_f32 v7, v2, v7, -v0
	v_fma_f32 v0, v8, 0.5, -v1
	v_fmac_f32_e32 v9, v6, v2
	v_fma_f32 v5, -v6, v3, v5
	v_fma_f32 v0, -v6, v2, v0
	ds_write_b32 v31, v9
	v_fma_f32 v1, -v6, v3, v7
                                        ; implicit-def: $vgpr2_vgpr3
.LBB0_10:
	s_andn2_saveexec_b64 s[0:1], s[0:1]
	s_cbranch_execz .LBB0_12
; %bb.11:
	ds_read_b32 v1, v30 offset:220
	v_mov_b32_e32 v5, 0
	s_waitcnt lgkmcnt(1)
	v_add_f32_e32 v6, v2, v3
	v_sub_f32_e32 v0, v2, v3
	ds_write_b32 v31, v6
	s_waitcnt lgkmcnt(1)
	v_xor_b32_e32 v1, 0x80000000, v1
	ds_write_b32 v30, v1 offset:220
	v_mov_b32_e32 v1, v5
.LBB0_12:
	s_or_b64 exec, exec, s[0:1]
	v_mov_b32_e32 v20, 0
	s_waitcnt lgkmcnt(0)
	v_lshlrev_b64 v[2:3], 3, v[19:20]
	v_mov_b32_e32 v6, s9
	v_add_co_u32_e64 v2, s[0:1], s8, v2
	v_addc_co_u32_e64 v3, s[0:1], v6, v3, s[0:1]
	global_load_dwordx2 v[6:7], v[2:3], off offset:408
	v_mov_b32_e32 v22, v20
	v_lshlrev_b64 v[2:3], 3, v[21:22]
	v_mov_b32_e32 v8, s9
	v_add_co_u32_e64 v2, s[0:1], s8, v2
	v_addc_co_u32_e64 v3, s[0:1], v8, v3, s[0:1]
	global_load_dwordx2 v[8:9], v[2:3], off offset:408
	v_mov_b32_e32 v17, v20
	s_add_u32 s0, s8, 0x198
	v_lshlrev_b64 v[2:3], 3, v[16:17]
	s_addc_u32 s1, s9, 0
	v_mov_b32_e32 v10, s1
	v_add_co_u32_e64 v2, s[0:1], s0, v2
	v_addc_co_u32_e64 v3, s[0:1], v10, v3, s[0:1]
	global_load_dwordx2 v[10:11], v[2:3], off offset:144
	ds_write_b32 v31, v5 offset:4
	ds_write_b64 v4, v[0:1] offset:432
	v_lshl_add_u32 v5, v19, 3, v30
	ds_read_b64 v[0:1], v5
	ds_read_b64 v[12:13], v4 offset:384
	v_lshl_add_u32 v14, v21, 3, v30
	s_waitcnt lgkmcnt(0)
	v_add_f32_e32 v15, v0, v12
	v_sub_f32_e32 v0, v0, v12
	v_add_f32_e32 v17, v1, v13
	v_sub_f32_e32 v1, v1, v13
	v_mul_f32_e32 v13, 0.5, v0
	v_mul_f32_e32 v12, 0.5, v17
	v_mul_f32_e32 v0, 0.5, v1
	s_waitcnt vmcnt(2)
	v_mul_f32_e32 v17, v7, v13
	v_fma_f32 v1, v12, v7, v0
	v_fma_f32 v7, v12, v7, -v0
	v_fma_f32 v0, 0.5, v15, v17
	v_fma_f32 v1, -v6, v13, v1
	v_fma_f32 v15, v15, 0.5, -v17
	v_fmac_f32_e32 v0, v6, v12
	v_fma_f32 v7, -v6, v13, v7
	v_fma_f32 v6, -v6, v12, v15
	ds_write_b64 v5, v[0:1]
	ds_write_b64 v4, v[6:7] offset:384
	ds_read_b64 v[0:1], v14
	ds_read_b64 v[5:6], v4 offset:336
	s_waitcnt lgkmcnt(0)
	v_add_f32_e32 v7, v0, v5
	v_sub_f32_e32 v0, v0, v5
	v_add_f32_e32 v12, v1, v6
	v_sub_f32_e32 v1, v1, v6
	v_mul_f32_e32 v6, 0.5, v0
	v_mul_f32_e32 v5, 0.5, v12
	;; [unrolled: 1-line block ×3, first 2 shown]
	s_waitcnt vmcnt(1)
	v_mul_f32_e32 v12, v9, v6
	v_fma_f32 v1, v5, v9, v0
	v_fma_f32 v9, v5, v9, -v0
	v_fma_f32 v0, 0.5, v7, v12
	v_fma_f32 v1, -v8, v6, v1
	v_fma_f32 v7, v7, 0.5, -v12
	v_fmac_f32_e32 v0, v8, v5
	v_fma_f32 v6, -v8, v6, v9
	v_fma_f32 v5, -v8, v5, v7
	ds_write_b64 v14, v[0:1]
	ds_write_b64 v4, v[5:6] offset:336
	ds_read_b64 v[0:1], v31 offset:144
	ds_read_b64 v[5:6], v4 offset:288
	v_or_b32_e32 v7, 24, v16
	v_cmp_gt_u32_e64 s[0:1], 27, v7
	s_waitcnt lgkmcnt(0)
	v_add_f32_e32 v8, v0, v5
	v_sub_f32_e32 v0, v0, v5
	v_add_f32_e32 v9, v1, v6
	v_sub_f32_e32 v1, v1, v6
	v_mul_f32_e32 v6, 0.5, v0
	v_mul_f32_e32 v5, 0.5, v9
	;; [unrolled: 1-line block ×3, first 2 shown]
	s_waitcnt vmcnt(0)
	v_mul_f32_e32 v9, v11, v6
	v_fma_f32 v1, v5, v11, v0
	v_fma_f32 v11, v5, v11, -v0
	v_fma_f32 v0, 0.5, v8, v9
	v_fma_f32 v1, -v10, v6, v1
	v_fma_f32 v8, v8, 0.5, -v9
	v_fmac_f32_e32 v0, v10, v5
	v_fma_f32 v6, -v10, v6, v11
	v_fma_f32 v5, -v10, v5, v8
	ds_write_b64 v31, v[0:1] offset:144
	ds_write_b64 v4, v[5:6] offset:288
	s_and_saveexec_b64 s[2:3], s[0:1]
	s_cbranch_execz .LBB0_14
; %bb.13:
	global_load_dwordx2 v[0:1], v[2:3], off offset:192
	ds_read_b64 v[2:3], v31 offset:192
	ds_read_b64 v[5:6], v4 offset:240
	s_waitcnt lgkmcnt(0)
	v_add_f32_e32 v7, v2, v5
	v_sub_f32_e32 v2, v2, v5
	v_add_f32_e32 v8, v3, v6
	v_sub_f32_e32 v3, v3, v6
	v_mul_f32_e32 v6, 0.5, v2
	v_mul_f32_e32 v5, 0.5, v8
	;; [unrolled: 1-line block ×3, first 2 shown]
	s_waitcnt vmcnt(0)
	v_mul_f32_e32 v3, v1, v6
	v_fma_f32 v8, v5, v1, v2
	v_fma_f32 v9, v5, v1, -v2
	v_fma_f32 v1, 0.5, v7, v3
	v_fma_f32 v2, -v0, v6, v8
	v_fma_f32 v3, v7, 0.5, -v3
	v_fmac_f32_e32 v1, v0, v5
	v_fma_f32 v6, -v0, v6, v9
	v_fma_f32 v5, -v0, v5, v3
	ds_write_b64 v31, v[1:2] offset:192
	ds_write_b64 v4, v[5:6] offset:240
.LBB0_14:
	s_or_b64 exec, exec, s[2:3]
	s_waitcnt lgkmcnt(0)
	; wave barrier
	s_waitcnt lgkmcnt(0)
	s_and_saveexec_b64 s[0:1], vcc
	s_cbranch_execz .LBB0_17
; %bb.15:
	v_mad_u64_u32 v[0:1], s[0:1], s6, v18, 0
	s_load_dwordx2 s[0:1], s[4:5], 0x58
	v_mov_b32_e32 v17, 0
	v_mad_u64_u32 v[1:2], s[2:3], s7, v18, v[1:2]
	v_lshl_add_u32 v2, v16, 3, v30
	s_waitcnt lgkmcnt(0)
	v_mov_b32_e32 v3, s1
	v_lshlrev_b64 v[0:1], 3, v[0:1]
	v_lshlrev_b64 v[7:8], 3, v[16:17]
	v_add_co_u32_e32 v0, vcc, s0, v0
	v_addc_co_u32_e32 v1, vcc, v3, v1, vcc
	ds_read2_b64 v[3:6], v2 offset1:6
	v_add_co_u32_e32 v7, vcc, v0, v7
	v_addc_co_u32_e32 v8, vcc, v1, v8, vcc
	s_waitcnt lgkmcnt(0)
	global_store_dwordx2 v[7:8], v[3:4], off
	v_add_u32_e32 v3, 6, v16
	v_mov_b32_e32 v4, v17
	v_lshlrev_b64 v[3:4], 3, v[3:4]
	v_add_u32_e32 v7, 12, v16
	v_add_co_u32_e32 v3, vcc, v0, v3
	v_addc_co_u32_e32 v4, vcc, v1, v4, vcc
	global_store_dwordx2 v[3:4], v[5:6], off
	v_mov_b32_e32 v8, v17
	ds_read2_b64 v[3:6], v2 offset0:12 offset1:18
	v_lshlrev_b64 v[7:8], 3, v[7:8]
	v_add_co_u32_e32 v7, vcc, v0, v7
	v_addc_co_u32_e32 v8, vcc, v1, v8, vcc
	s_waitcnt lgkmcnt(0)
	global_store_dwordx2 v[7:8], v[3:4], off
	v_add_u32_e32 v3, 18, v16
	v_mov_b32_e32 v4, v17
	v_lshlrev_b64 v[3:4], 3, v[3:4]
	v_add_u32_e32 v7, 24, v16
	v_add_co_u32_e32 v3, vcc, v0, v3
	v_addc_co_u32_e32 v4, vcc, v1, v4, vcc
	global_store_dwordx2 v[3:4], v[5:6], off
	v_mov_b32_e32 v8, v17
	ds_read2_b64 v[3:6], v2 offset0:24 offset1:30
	v_lshlrev_b64 v[7:8], 3, v[7:8]
	;; [unrolled: 14-line block ×3, first 2 shown]
	v_add_co_u32_e32 v7, vcc, v0, v7
	v_addc_co_u32_e32 v8, vcc, v1, v8, vcc
	s_waitcnt lgkmcnt(0)
	global_store_dwordx2 v[7:8], v[3:4], off
	v_add_u32_e32 v3, 42, v16
	v_mov_b32_e32 v4, v17
	v_lshlrev_b64 v[3:4], 3, v[3:4]
	v_add_co_u32_e32 v3, vcc, v0, v3
	v_addc_co_u32_e32 v4, vcc, v1, v4, vcc
	global_store_dwordx2 v[3:4], v[5:6], off
	v_add_u32_e32 v3, 48, v16
	v_mov_b32_e32 v4, v17
	ds_read_b64 v[5:6], v2 offset:384
	v_lshlrev_b64 v[3:4], 3, v[3:4]
	v_add_co_u32_e32 v3, vcc, v0, v3
	v_addc_co_u32_e32 v4, vcc, v1, v4, vcc
	v_cmp_eq_u32_e32 vcc, 5, v16
	s_waitcnt lgkmcnt(0)
	global_store_dwordx2 v[3:4], v[5:6], off
	s_and_b64 exec, exec, vcc
	s_cbranch_execz .LBB0_17
; %bb.16:
	ds_read_b64 v[2:3], v2 offset:392
	s_waitcnt lgkmcnt(0)
	global_store_dwordx2 v[0:1], v[2:3], off offset:432
.LBB0_17:
	s_endpgm
	.section	.rodata,"a",@progbits
	.p2align	6, 0x0
	.amdhsa_kernel fft_rtc_back_len54_factors_3_3_6_wgs_60_tpt_6_dim1_sp_op_CI_CI_unitstride_sbrr_R2C_dirReg
		.amdhsa_group_segment_fixed_size 0
		.amdhsa_private_segment_fixed_size 0
		.amdhsa_kernarg_size 96
		.amdhsa_user_sgpr_count 6
		.amdhsa_user_sgpr_private_segment_buffer 1
		.amdhsa_user_sgpr_dispatch_ptr 0
		.amdhsa_user_sgpr_queue_ptr 0
		.amdhsa_user_sgpr_kernarg_segment_ptr 1
		.amdhsa_user_sgpr_dispatch_id 0
		.amdhsa_user_sgpr_flat_scratch_init 0
		.amdhsa_user_sgpr_private_segment_size 0
		.amdhsa_uses_dynamic_stack 0
		.amdhsa_system_sgpr_private_segment_wavefront_offset 0
		.amdhsa_system_sgpr_workgroup_id_x 1
		.amdhsa_system_sgpr_workgroup_id_y 0
		.amdhsa_system_sgpr_workgroup_id_z 0
		.amdhsa_system_sgpr_workgroup_info 0
		.amdhsa_system_vgpr_workitem_id 0
		.amdhsa_next_free_vgpr 49
		.amdhsa_next_free_sgpr 14
		.amdhsa_reserve_vcc 1
		.amdhsa_reserve_flat_scratch 0
		.amdhsa_float_round_mode_32 0
		.amdhsa_float_round_mode_16_64 0
		.amdhsa_float_denorm_mode_32 3
		.amdhsa_float_denorm_mode_16_64 3
		.amdhsa_dx10_clamp 1
		.amdhsa_ieee_mode 1
		.amdhsa_fp16_overflow 0
		.amdhsa_exception_fp_ieee_invalid_op 0
		.amdhsa_exception_fp_denorm_src 0
		.amdhsa_exception_fp_ieee_div_zero 0
		.amdhsa_exception_fp_ieee_overflow 0
		.amdhsa_exception_fp_ieee_underflow 0
		.amdhsa_exception_fp_ieee_inexact 0
		.amdhsa_exception_int_div_zero 0
	.end_amdhsa_kernel
	.text
.Lfunc_end0:
	.size	fft_rtc_back_len54_factors_3_3_6_wgs_60_tpt_6_dim1_sp_op_CI_CI_unitstride_sbrr_R2C_dirReg, .Lfunc_end0-fft_rtc_back_len54_factors_3_3_6_wgs_60_tpt_6_dim1_sp_op_CI_CI_unitstride_sbrr_R2C_dirReg
                                        ; -- End function
	.section	.AMDGPU.csdata,"",@progbits
; Kernel info:
; codeLenInByte = 4036
; NumSgprs: 18
; NumVgprs: 49
; ScratchSize: 0
; MemoryBound: 0
; FloatMode: 240
; IeeeMode: 1
; LDSByteSize: 0 bytes/workgroup (compile time only)
; SGPRBlocks: 2
; VGPRBlocks: 12
; NumSGPRsForWavesPerEU: 18
; NumVGPRsForWavesPerEU: 49
; Occupancy: 4
; WaveLimiterHint : 1
; COMPUTE_PGM_RSRC2:SCRATCH_EN: 0
; COMPUTE_PGM_RSRC2:USER_SGPR: 6
; COMPUTE_PGM_RSRC2:TRAP_HANDLER: 0
; COMPUTE_PGM_RSRC2:TGID_X_EN: 1
; COMPUTE_PGM_RSRC2:TGID_Y_EN: 0
; COMPUTE_PGM_RSRC2:TGID_Z_EN: 0
; COMPUTE_PGM_RSRC2:TIDIG_COMP_CNT: 0
	.type	__hip_cuid_60d557f8bd1955e5,@object ; @__hip_cuid_60d557f8bd1955e5
	.section	.bss,"aw",@nobits
	.globl	__hip_cuid_60d557f8bd1955e5
__hip_cuid_60d557f8bd1955e5:
	.byte	0                               ; 0x0
	.size	__hip_cuid_60d557f8bd1955e5, 1

	.ident	"AMD clang version 19.0.0git (https://github.com/RadeonOpenCompute/llvm-project roc-6.4.0 25133 c7fe45cf4b819c5991fe208aaa96edf142730f1d)"
	.section	".note.GNU-stack","",@progbits
	.addrsig
	.addrsig_sym __hip_cuid_60d557f8bd1955e5
	.amdgpu_metadata
---
amdhsa.kernels:
  - .args:
      - .actual_access:  read_only
        .address_space:  global
        .offset:         0
        .size:           8
        .value_kind:     global_buffer
      - .actual_access:  read_only
        .address_space:  global
        .offset:         8
        .size:           8
        .value_kind:     global_buffer
      - .actual_access:  read_only
        .address_space:  global
        .offset:         16
        .size:           8
        .value_kind:     global_buffer
      - .actual_access:  read_only
        .address_space:  global
        .offset:         24
        .size:           8
        .value_kind:     global_buffer
      - .offset:         32
        .size:           8
        .value_kind:     by_value
      - .actual_access:  read_only
        .address_space:  global
        .offset:         40
        .size:           8
        .value_kind:     global_buffer
      - .actual_access:  read_only
        .address_space:  global
        .offset:         48
        .size:           8
        .value_kind:     global_buffer
      - .offset:         56
        .size:           4
        .value_kind:     by_value
      - .actual_access:  read_only
        .address_space:  global
        .offset:         64
        .size:           8
        .value_kind:     global_buffer
      - .actual_access:  read_only
        .address_space:  global
        .offset:         72
        .size:           8
        .value_kind:     global_buffer
      - .actual_access:  read_only
        .address_space:  global
        .offset:         80
        .size:           8
        .value_kind:     global_buffer
      - .actual_access:  write_only
        .address_space:  global
        .offset:         88
        .size:           8
        .value_kind:     global_buffer
    .group_segment_fixed_size: 0
    .kernarg_segment_align: 8
    .kernarg_segment_size: 96
    .language:       OpenCL C
    .language_version:
      - 2
      - 0
    .max_flat_workgroup_size: 60
    .name:           fft_rtc_back_len54_factors_3_3_6_wgs_60_tpt_6_dim1_sp_op_CI_CI_unitstride_sbrr_R2C_dirReg
    .private_segment_fixed_size: 0
    .sgpr_count:     18
    .sgpr_spill_count: 0
    .symbol:         fft_rtc_back_len54_factors_3_3_6_wgs_60_tpt_6_dim1_sp_op_CI_CI_unitstride_sbrr_R2C_dirReg.kd
    .uniform_work_group_size: 1
    .uses_dynamic_stack: false
    .vgpr_count:     49
    .vgpr_spill_count: 0
    .wavefront_size: 64
amdhsa.target:   amdgcn-amd-amdhsa--gfx906
amdhsa.version:
  - 1
  - 2
...

	.end_amdgpu_metadata
